;; amdgpu-corpus repo=GPUOpen-LibrariesAndSDKs/Orochi kind=compiled arch=gfx906 opt=O3
	.amdgcn_target "amdgcn-amd-amdhsa--gfx906"
	.amdhsa_code_object_version 6
	.text
	.protected	texture_test            ; -- Begin function texture_test
	.globl	texture_test
	.p2align	8
	.type	texture_test,@function
texture_test:                           ; @texture_test
; %bb.0:
	s_load_dword s2, s[4:5], 0x24
	s_load_dwordx2 s[0:1], s[4:5], 0x10
	s_waitcnt lgkmcnt(0)
	s_lshr_b32 s3, s2, 16
	s_and_b32 s2, s2, 0xffff
	s_mul_i32 s6, s6, s2
	s_mul_i32 s7, s7, s3
	v_add_u32_e32 v3, s6, v0
	v_add_u32_e32 v4, s7, v1
	v_cmp_gt_i32_e32 vcc, s0, v3
	v_cmp_gt_i32_e64 s[0:1], s1, v4
	s_and_b64 s[0:1], vcc, s[0:1]
	s_and_saveexec_b64 s[2:3], s[0:1]
	s_cbranch_execz .LBB0_9
; %bb.1:
	s_load_dwordx4 s[0:3], s[4:5], 0x0
	v_cvt_f32_i32_e32 v0, v4
	v_cvt_f32_i32_e32 v5, v3
	v_lshlrev_b32_e32 v3, 2, v3
	s_waitcnt lgkmcnt(0)
	s_load_dwordx4 s[12:15], s[0:1], 0x30
	s_load_dword s16, s[0:1], 0x28
	s_load_dwordx8 s[4:11], s[0:1], 0x0
	s_waitcnt lgkmcnt(0)
	s_bitcmp0_b32 s14, 20
	s_cselect_b64 vcc, -1, 0
	s_bitcmp0_b32 s12, 15
	s_cselect_b64 s[0:1], -1, 0
	s_bfe_u32 s17, s6, 0xe000e
	s_add_i32 s17, s17, 1
	v_cvt_f32_u32_e32 v1, s17
	v_cvt_f32_u32_e32 v2, s16
	v_cndmask_b32_e64 v1, 1.0, v1, s[0:1]
	v_cndmask_b32_e64 v2, 1.0, v2, s[0:1]
	v_rcp_f32_e32 v6, v1
	v_rcp_f32_e32 v7, v2
	v_mul_f32_e32 v1, v1, v0
	v_mul_f32_e32 v2, v2, v5
	v_floor_f32_e32 v1, v1
	v_floor_f32_e32 v2, v2
	v_mul_f32_e32 v1, v6, v1
	v_mul_f32_e32 v2, v7, v2
	v_cndmask_b32_e32 v1, v0, v1, vcc
	v_cndmask_b32_e32 v0, v5, v2, vcc
	image_sample_lz v[0:2], v[0:1], s[4:11], s[12:15] dmask:0x7
	s_load_dwordx2 s[0:1], s[2:3], 0x20
	s_waitcnt lgkmcnt(0)
	s_cmp_lg_u32 s0, 4
	s_cbranch_scc0 .LBB0_3
; %bb.2:
	s_ashr_i32 s5, s0, 31
	s_mov_b32 s4, s0
	s_lshl_b64 s[4:5], s[4:5], 2
	s_getpc_b64 s[6:7]
	s_add_u32 s6, s6, _ZZL17__hipGetPixelAddriiiE9FormatLUT@rel32@lo+4
	s_addc_u32 s7, s7, _ZZL17__hipGetPixelAddriiiE9FormatLUT@rel32@hi+12
	s_add_u32 s4, s6, s4
	s_addc_u32 s5, s7, s5
	s_load_dword s0, s[4:5], 0x0
	s_waitcnt lgkmcnt(0)
	v_ashrrev_i32_e32 v5, s0, v3
	s_cbranch_execz .LBB0_4
	s_branch .LBB0_5
.LBB0_3:
                                        ; implicit-def: $vgpr5
.LBB0_4:
	s_mov_b32 s0, 0x55555556
	v_mul_hi_i32 v3, v3, s0
	v_lshrrev_b32_e32 v5, 31, v3
	v_add_u32_e32 v5, v3, v5
.LBB0_5:
	s_lshl_b64 s[4:5], 1, s1
	s_and_b32 s4, s4, 0x1050
	s_mov_b32 s5, 0
	s_cmp_eq_u64 s[4:5], 0
	s_mov_b64 s[4:5], 0
	s_cbranch_scc1 .LBB0_10
; %bb.6:
	s_mov_b32 s0, 0x55555556
	v_mul_hi_i32 v3, v5, s0
	v_lshrrev_b32_e32 v6, 31, v3
	v_add_u32_e32 v3, v3, v6
	s_andn2_b64 vcc, exec, s[4:5]
	s_cbranch_vccnz .LBB0_8
.LBB0_7:
	s_ashr_i32 s5, s1, 31
	s_mov_b32 s4, s1
	s_lshl_b64 s[0:1], s[4:5], 2
	s_getpc_b64 s[4:5]
	s_add_u32 s4, s4, _ZZL17__hipGetPixelAddriiiE8OrderLUT@rel32@lo+4
	s_addc_u32 s5, s5, _ZZL17__hipGetPixelAddriiiE8OrderLUT@rel32@hi+12
	s_add_u32 s0, s4, s0
	s_addc_u32 s1, s5, s1
	s_load_dword s0, s[0:1], 0x0
	s_waitcnt lgkmcnt(0)
	v_ashrrev_i32_e32 v3, s0, v5
.LBB0_8:
	v_mov_b32_e32 v5, 0x42200000
	s_waitcnt vmcnt(0)
	v_fmac_f32_e32 v5, 0x437f0000, v0
	v_cvt_i32_f32_e32 v0, v5
	v_mov_b32_e32 v5, 0xc2200000
	v_mov_b32_e32 v6, 0xc2200000
	v_fmac_f32_e32 v6, 0x437f0000, v1
	v_fmac_f32_e32 v5, 0x437f0000, v2
	v_cvt_i32_f32_e32 v1, v6
	v_cvt_i32_f32_e32 v2, v5
	s_load_dwordx8 s[0:7], s[2:3], 0x0
	v_min_i32_e32 v0, 0xff, v0
	v_max_i32_e32 v1, 0, v1
	v_max_i32_e32 v2, 0, v2
	v_and_b32_e32 v5, 0xff, v0
	v_and_b32_e32 v7, 0xff, v2
	;; [unrolled: 1-line block ×3, first 2 shown]
	v_mov_b32_e32 v8, 0xff
	s_waitcnt lgkmcnt(0)
	image_store v[5:8], v[3:4], s[0:7] dmask:0xf unorm
.LBB0_9:
	s_endpgm
.LBB0_10:
	s_branch .LBB0_7
	.section	.rodata,"a",@progbits
	.p2align	6, 0x0
	.amdhsa_kernel texture_test
		.amdhsa_group_segment_fixed_size 0
		.amdhsa_private_segment_fixed_size 0
		.amdhsa_kernarg_size 280
		.amdhsa_user_sgpr_count 6
		.amdhsa_user_sgpr_private_segment_buffer 1
		.amdhsa_user_sgpr_dispatch_ptr 0
		.amdhsa_user_sgpr_queue_ptr 0
		.amdhsa_user_sgpr_kernarg_segment_ptr 1
		.amdhsa_user_sgpr_dispatch_id 0
		.amdhsa_user_sgpr_flat_scratch_init 0
		.amdhsa_user_sgpr_private_segment_size 0
		.amdhsa_uses_dynamic_stack 0
		.amdhsa_system_sgpr_private_segment_wavefront_offset 0
		.amdhsa_system_sgpr_workgroup_id_x 1
		.amdhsa_system_sgpr_workgroup_id_y 1
		.amdhsa_system_sgpr_workgroup_id_z 0
		.amdhsa_system_sgpr_workgroup_info 0
		.amdhsa_system_vgpr_workitem_id 1
		.amdhsa_next_free_vgpr 9
		.amdhsa_next_free_sgpr 18
		.amdhsa_reserve_vcc 1
		.amdhsa_reserve_flat_scratch 0
		.amdhsa_float_round_mode_32 0
		.amdhsa_float_round_mode_16_64 0
		.amdhsa_float_denorm_mode_32 3
		.amdhsa_float_denorm_mode_16_64 3
		.amdhsa_dx10_clamp 1
		.amdhsa_ieee_mode 1
		.amdhsa_fp16_overflow 0
		.amdhsa_exception_fp_ieee_invalid_op 0
		.amdhsa_exception_fp_denorm_src 0
		.amdhsa_exception_fp_ieee_div_zero 0
		.amdhsa_exception_fp_ieee_overflow 0
		.amdhsa_exception_fp_ieee_underflow 0
		.amdhsa_exception_fp_ieee_inexact 0
		.amdhsa_exception_int_div_zero 0
	.end_amdhsa_kernel
	.text
.Lfunc_end0:
	.size	texture_test, .Lfunc_end0-texture_test
                                        ; -- End function
	.set texture_test.num_vgpr, 9
	.set texture_test.num_agpr, 0
	.set texture_test.numbered_sgpr, 18
	.set texture_test.num_named_barrier, 0
	.set texture_test.private_seg_size, 0
	.set texture_test.uses_vcc, 1
	.set texture_test.uses_flat_scratch, 0
	.set texture_test.has_dyn_sized_stack, 0
	.set texture_test.has_recursion, 0
	.set texture_test.has_indirect_call, 0
	.section	.AMDGPU.csdata,"",@progbits
; Kernel info:
; codeLenInByte = 588
; TotalNumSgprs: 22
; NumVgprs: 9
; ScratchSize: 0
; MemoryBound: 0
; FloatMode: 240
; IeeeMode: 1
; LDSByteSize: 0 bytes/workgroup (compile time only)
; SGPRBlocks: 2
; VGPRBlocks: 2
; NumSGPRsForWavesPerEU: 22
; NumVGPRsForWavesPerEU: 9
; Occupancy: 10
; WaveLimiterHint : 0
; COMPUTE_PGM_RSRC2:SCRATCH_EN: 0
; COMPUTE_PGM_RSRC2:USER_SGPR: 6
; COMPUTE_PGM_RSRC2:TRAP_HANDLER: 0
; COMPUTE_PGM_RSRC2:TGID_X_EN: 1
; COMPUTE_PGM_RSRC2:TGID_Y_EN: 1
; COMPUTE_PGM_RSRC2:TGID_Z_EN: 0
; COMPUTE_PGM_RSRC2:TIDIG_COMP_CNT: 1
	.section	.AMDGPU.gpr_maximums,"",@progbits
	.set amdgpu.max_num_vgpr, 0
	.set amdgpu.max_num_agpr, 0
	.set amdgpu.max_num_sgpr, 0
	.section	.AMDGPU.csdata,"",@progbits
	.type	_ZZL17__hipGetPixelAddriiiE9FormatLUT,@object ; @_ZZL17__hipGetPixelAddriiiE9FormatLUT
	.section	.rodata,"a",@progbits
	.p2align	4, 0x0
_ZZL17__hipGetPixelAddriiiE9FormatLUT:
	.long	0                               ; 0x0
	.long	1                               ; 0x1
	;; [unrolled: 1-line block ×16, first 2 shown]
	.size	_ZZL17__hipGetPixelAddriiiE9FormatLUT, 64

	.type	_ZZL17__hipGetPixelAddriiiE8OrderLUT,@object ; @_ZZL17__hipGetPixelAddriiiE8OrderLUT
	.p2align	4, 0x0
_ZZL17__hipGetPixelAddriiiE8OrderLUT:
	.long	0                               ; 0x0
	.long	0                               ; 0x0
	;; [unrolled: 1-line block ×20, first 2 shown]
	.size	_ZZL17__hipGetPixelAddriiiE8OrderLUT, 80

	.type	__hip_cuid_22bca13f090f1504,@object ; @__hip_cuid_22bca13f090f1504
	.section	.bss,"aw",@nobits
	.globl	__hip_cuid_22bca13f090f1504
__hip_cuid_22bca13f090f1504:
	.byte	0                               ; 0x0
	.size	__hip_cuid_22bca13f090f1504, 1

	.ident	"AMD clang version 22.0.0git (https://github.com/RadeonOpenCompute/llvm-project roc-7.2.4 26084 f58b06dce1f9c15707c5f808fd002e18c2accf7e)"
	.section	".note.GNU-stack","",@progbits
	.addrsig
	.addrsig_sym __hip_cuid_22bca13f090f1504
	.amdgpu_metadata
---
amdhsa.kernels:
  - .args:
      - .address_space:  global
        .offset:         0
        .size:           8
        .value_kind:     global_buffer
      - .address_space:  global
        .offset:         8
        .size:           8
        .value_kind:     global_buffer
      - .offset:         16
        .size:           4
        .value_kind:     by_value
      - .offset:         20
        .size:           4
        .value_kind:     by_value
      - .offset:         24
        .size:           4
        .value_kind:     hidden_block_count_x
      - .offset:         28
        .size:           4
        .value_kind:     hidden_block_count_y
      - .offset:         32
        .size:           4
        .value_kind:     hidden_block_count_z
      - .offset:         36
        .size:           2
        .value_kind:     hidden_group_size_x
      - .offset:         38
        .size:           2
        .value_kind:     hidden_group_size_y
      - .offset:         40
        .size:           2
        .value_kind:     hidden_group_size_z
      - .offset:         42
        .size:           2
        .value_kind:     hidden_remainder_x
      - .offset:         44
        .size:           2
        .value_kind:     hidden_remainder_y
      - .offset:         46
        .size:           2
        .value_kind:     hidden_remainder_z
      - .offset:         64
        .size:           8
        .value_kind:     hidden_global_offset_x
      - .offset:         72
        .size:           8
        .value_kind:     hidden_global_offset_y
      - .offset:         80
        .size:           8
        .value_kind:     hidden_global_offset_z
      - .offset:         88
        .size:           2
        .value_kind:     hidden_grid_dims
    .group_segment_fixed_size: 0
    .kernarg_segment_align: 8
    .kernarg_segment_size: 280
    .language:       OpenCL C
    .language_version:
      - 2
      - 0
    .max_flat_workgroup_size: 1024
    .name:           texture_test
    .private_segment_fixed_size: 0
    .sgpr_count:     22
    .sgpr_spill_count: 0
    .symbol:         texture_test.kd
    .uniform_work_group_size: 1
    .uses_dynamic_stack: false
    .vgpr_count:     9
    .vgpr_spill_count: 0
    .wavefront_size: 64
amdhsa.target:   amdgcn-amd-amdhsa--gfx906
amdhsa.version:
  - 1
  - 2
...

	.end_amdgpu_metadata
